;; amdgpu-corpus repo=ROCm/rocFFT kind=compiled arch=gfx906 opt=O3
	.text
	.amdgcn_target "amdgcn-amd-amdhsa--gfx906"
	.amdhsa_code_object_version 6
	.protected	fft_rtc_back_len1800_factors_10_6_10_3_wgs_180_tpt_180_halfLds_half_op_CI_CI_sbrr_dirReg ; -- Begin function fft_rtc_back_len1800_factors_10_6_10_3_wgs_180_tpt_180_halfLds_half_op_CI_CI_sbrr_dirReg
	.globl	fft_rtc_back_len1800_factors_10_6_10_3_wgs_180_tpt_180_halfLds_half_op_CI_CI_sbrr_dirReg
	.p2align	8
	.type	fft_rtc_back_len1800_factors_10_6_10_3_wgs_180_tpt_180_halfLds_half_op_CI_CI_sbrr_dirReg,@function
fft_rtc_back_len1800_factors_10_6_10_3_wgs_180_tpt_180_halfLds_half_op_CI_CI_sbrr_dirReg: ; @fft_rtc_back_len1800_factors_10_6_10_3_wgs_180_tpt_180_halfLds_half_op_CI_CI_sbrr_dirReg
; %bb.0:
	s_load_dwordx4 s[16:19], s[4:5], 0x18
	s_load_dwordx4 s[8:11], s[4:5], 0x0
	;; [unrolled: 1-line block ×3, first 2 shown]
	v_mul_u32_u24_e32 v1, 0x16d, v0
	v_mov_b32_e32 v7, 0
	s_waitcnt lgkmcnt(0)
	s_load_dwordx2 s[20:21], s[16:17], 0x0
	s_load_dwordx2 s[2:3], s[18:19], 0x0
	v_cmp_lt_u64_e64 s[0:1], s[10:11], 2
	v_mov_b32_e32 v5, 0
	v_add_u32_sdwa v9, s6, v1 dst_sel:DWORD dst_unused:UNUSED_PAD src0_sel:DWORD src1_sel:WORD_1
	v_mov_b32_e32 v10, v7
	s_and_b64 vcc, exec, s[0:1]
	v_mov_b32_e32 v6, 0
	s_cbranch_vccnz .LBB0_8
; %bb.1:
	s_load_dwordx2 s[0:1], s[4:5], 0x10
	s_add_u32 s6, s18, 8
	s_addc_u32 s7, s19, 0
	s_add_u32 s22, s16, 8
	s_addc_u32 s23, s17, 0
	v_mov_b32_e32 v5, 0
	s_waitcnt lgkmcnt(0)
	s_add_u32 s24, s0, 8
	v_mov_b32_e32 v6, 0
	v_mov_b32_e32 v1, v5
	s_addc_u32 s25, s1, 0
	s_mov_b64 s[26:27], 1
	v_mov_b32_e32 v2, v6
.LBB0_2:                                ; =>This Inner Loop Header: Depth=1
	s_load_dwordx2 s[28:29], s[24:25], 0x0
                                        ; implicit-def: $vgpr3_vgpr4
	s_waitcnt lgkmcnt(0)
	v_or_b32_e32 v8, s29, v10
	v_cmp_ne_u64_e32 vcc, 0, v[7:8]
	s_and_saveexec_b64 s[0:1], vcc
	s_xor_b64 s[30:31], exec, s[0:1]
	s_cbranch_execz .LBB0_4
; %bb.3:                                ;   in Loop: Header=BB0_2 Depth=1
	v_cvt_f32_u32_e32 v3, s28
	v_cvt_f32_u32_e32 v4, s29
	s_sub_u32 s0, 0, s28
	s_subb_u32 s1, 0, s29
	v_mac_f32_e32 v3, 0x4f800000, v4
	v_rcp_f32_e32 v3, v3
	v_mul_f32_e32 v3, 0x5f7ffffc, v3
	v_mul_f32_e32 v4, 0x2f800000, v3
	v_trunc_f32_e32 v4, v4
	v_mac_f32_e32 v3, 0xcf800000, v4
	v_cvt_u32_f32_e32 v4, v4
	v_cvt_u32_f32_e32 v3, v3
	v_mul_lo_u32 v8, s0, v4
	v_mul_hi_u32 v11, s0, v3
	v_mul_lo_u32 v13, s1, v3
	v_mul_lo_u32 v12, s0, v3
	v_add_u32_e32 v8, v11, v8
	v_add_u32_e32 v8, v8, v13
	v_mul_hi_u32 v11, v3, v12
	v_mul_lo_u32 v13, v3, v8
	v_mul_hi_u32 v15, v3, v8
	v_mul_hi_u32 v14, v4, v12
	v_mul_lo_u32 v12, v4, v12
	v_mul_hi_u32 v16, v4, v8
	v_add_co_u32_e32 v11, vcc, v11, v13
	v_addc_co_u32_e32 v13, vcc, 0, v15, vcc
	v_mul_lo_u32 v8, v4, v8
	v_add_co_u32_e32 v11, vcc, v11, v12
	v_addc_co_u32_e32 v11, vcc, v13, v14, vcc
	v_addc_co_u32_e32 v12, vcc, 0, v16, vcc
	v_add_co_u32_e32 v8, vcc, v11, v8
	v_addc_co_u32_e32 v11, vcc, 0, v12, vcc
	v_add_co_u32_e32 v3, vcc, v3, v8
	v_addc_co_u32_e32 v4, vcc, v4, v11, vcc
	v_mul_lo_u32 v8, s0, v4
	v_mul_hi_u32 v11, s0, v3
	v_mul_lo_u32 v12, s1, v3
	v_mul_lo_u32 v13, s0, v3
	v_add_u32_e32 v8, v11, v8
	v_add_u32_e32 v8, v8, v12
	v_mul_lo_u32 v14, v3, v8
	v_mul_hi_u32 v15, v3, v13
	v_mul_hi_u32 v16, v3, v8
	;; [unrolled: 1-line block ×3, first 2 shown]
	v_mul_lo_u32 v13, v4, v13
	v_mul_hi_u32 v11, v4, v8
	v_add_co_u32_e32 v14, vcc, v15, v14
	v_addc_co_u32_e32 v15, vcc, 0, v16, vcc
	v_mul_lo_u32 v8, v4, v8
	v_add_co_u32_e32 v13, vcc, v14, v13
	v_addc_co_u32_e32 v12, vcc, v15, v12, vcc
	v_addc_co_u32_e32 v11, vcc, 0, v11, vcc
	v_add_co_u32_e32 v8, vcc, v12, v8
	v_addc_co_u32_e32 v11, vcc, 0, v11, vcc
	v_add_co_u32_e32 v8, vcc, v3, v8
	v_addc_co_u32_e32 v11, vcc, v4, v11, vcc
	v_mad_u64_u32 v[3:4], s[0:1], v9, v11, 0
	v_mul_hi_u32 v12, v9, v8
	v_add_co_u32_e32 v13, vcc, v12, v3
	v_addc_co_u32_e32 v14, vcc, 0, v4, vcc
	v_mad_u64_u32 v[3:4], s[0:1], v10, v8, 0
	v_mad_u64_u32 v[11:12], s[0:1], v10, v11, 0
	v_add_co_u32_e32 v3, vcc, v13, v3
	v_addc_co_u32_e32 v3, vcc, v14, v4, vcc
	v_addc_co_u32_e32 v4, vcc, 0, v12, vcc
	v_add_co_u32_e32 v8, vcc, v3, v11
	v_addc_co_u32_e32 v11, vcc, 0, v4, vcc
	v_mul_lo_u32 v12, s29, v8
	v_mul_lo_u32 v13, s28, v11
	v_mad_u64_u32 v[3:4], s[0:1], s28, v8, 0
	v_add3_u32 v4, v4, v13, v12
	v_sub_u32_e32 v12, v10, v4
	v_mov_b32_e32 v13, s29
	v_sub_co_u32_e32 v3, vcc, v9, v3
	v_subb_co_u32_e64 v12, s[0:1], v12, v13, vcc
	v_subrev_co_u32_e64 v13, s[0:1], s28, v3
	v_subbrev_co_u32_e64 v12, s[0:1], 0, v12, s[0:1]
	v_cmp_le_u32_e64 s[0:1], s29, v12
	v_cndmask_b32_e64 v14, 0, -1, s[0:1]
	v_cmp_le_u32_e64 s[0:1], s28, v13
	v_cndmask_b32_e64 v13, 0, -1, s[0:1]
	v_cmp_eq_u32_e64 s[0:1], s29, v12
	v_cndmask_b32_e64 v12, v14, v13, s[0:1]
	v_add_co_u32_e64 v13, s[0:1], 2, v8
	v_addc_co_u32_e64 v14, s[0:1], 0, v11, s[0:1]
	v_add_co_u32_e64 v15, s[0:1], 1, v8
	v_addc_co_u32_e64 v16, s[0:1], 0, v11, s[0:1]
	v_subb_co_u32_e32 v4, vcc, v10, v4, vcc
	v_cmp_ne_u32_e64 s[0:1], 0, v12
	v_cmp_le_u32_e32 vcc, s29, v4
	v_cndmask_b32_e64 v12, v16, v14, s[0:1]
	v_cndmask_b32_e64 v14, 0, -1, vcc
	v_cmp_le_u32_e32 vcc, s28, v3
	v_cndmask_b32_e64 v3, 0, -1, vcc
	v_cmp_eq_u32_e32 vcc, s29, v4
	v_cndmask_b32_e32 v3, v14, v3, vcc
	v_cmp_ne_u32_e32 vcc, 0, v3
	v_cndmask_b32_e64 v3, v15, v13, s[0:1]
	v_cndmask_b32_e32 v4, v11, v12, vcc
	v_cndmask_b32_e32 v3, v8, v3, vcc
.LBB0_4:                                ;   in Loop: Header=BB0_2 Depth=1
	s_andn2_saveexec_b64 s[0:1], s[30:31]
	s_cbranch_execz .LBB0_6
; %bb.5:                                ;   in Loop: Header=BB0_2 Depth=1
	v_cvt_f32_u32_e32 v3, s28
	s_sub_i32 s30, 0, s28
	v_rcp_iflag_f32_e32 v3, v3
	v_mul_f32_e32 v3, 0x4f7ffffe, v3
	v_cvt_u32_f32_e32 v3, v3
	v_mul_lo_u32 v4, s30, v3
	v_mul_hi_u32 v4, v3, v4
	v_add_u32_e32 v3, v3, v4
	v_mul_hi_u32 v3, v9, v3
	v_mul_lo_u32 v4, v3, s28
	v_add_u32_e32 v8, 1, v3
	v_sub_u32_e32 v4, v9, v4
	v_subrev_u32_e32 v11, s28, v4
	v_cmp_le_u32_e32 vcc, s28, v4
	v_cndmask_b32_e32 v4, v4, v11, vcc
	v_cndmask_b32_e32 v3, v3, v8, vcc
	v_add_u32_e32 v8, 1, v3
	v_cmp_le_u32_e32 vcc, s28, v4
	v_cndmask_b32_e32 v3, v3, v8, vcc
	v_mov_b32_e32 v4, v7
.LBB0_6:                                ;   in Loop: Header=BB0_2 Depth=1
	s_or_b64 exec, exec, s[0:1]
	v_mul_lo_u32 v8, v4, s28
	v_mul_lo_u32 v13, v3, s29
	v_mad_u64_u32 v[11:12], s[0:1], v3, s28, 0
	s_load_dwordx2 s[0:1], s[22:23], 0x0
	s_load_dwordx2 s[28:29], s[6:7], 0x0
	v_add3_u32 v8, v12, v13, v8
	v_sub_co_u32_e32 v9, vcc, v9, v11
	v_subb_co_u32_e32 v8, vcc, v10, v8, vcc
	s_waitcnt lgkmcnt(0)
	v_mul_lo_u32 v10, s0, v8
	v_mul_lo_u32 v11, s1, v9
	v_mad_u64_u32 v[5:6], s[0:1], s0, v9, v[5:6]
	v_mul_lo_u32 v8, s28, v8
	v_mul_lo_u32 v12, s29, v9
	v_mad_u64_u32 v[1:2], s[0:1], s28, v9, v[1:2]
	s_add_u32 s26, s26, 1
	s_addc_u32 s27, s27, 0
	s_add_u32 s6, s6, 8
	v_add3_u32 v2, v12, v2, v8
	s_addc_u32 s7, s7, 0
	v_mov_b32_e32 v8, s10
	s_add_u32 s22, s22, 8
	v_mov_b32_e32 v9, s11
	s_addc_u32 s23, s23, 0
	v_cmp_ge_u64_e32 vcc, s[26:27], v[8:9]
	s_add_u32 s24, s24, 8
	v_add3_u32 v6, v11, v6, v10
	s_addc_u32 s25, s25, 0
	s_cbranch_vccnz .LBB0_9
; %bb.7:                                ;   in Loop: Header=BB0_2 Depth=1
	v_mov_b32_e32 v10, v4
	v_mov_b32_e32 v9, v3
	s_branch .LBB0_2
.LBB0_8:
	v_mov_b32_e32 v1, v5
	v_mov_b32_e32 v3, v9
	;; [unrolled: 1-line block ×4, first 2 shown]
.LBB0_9:
	s_load_dwordx2 s[0:1], s[4:5], 0x28
	s_lshl_b64 s[10:11], s[10:11], 3
	s_add_u32 s4, s18, s10
	s_addc_u32 s5, s19, s11
                                        ; implicit-def: $vgpr7
                                        ; implicit-def: $vgpr8
	s_waitcnt lgkmcnt(0)
	v_cmp_gt_u64_e32 vcc, s[0:1], v[3:4]
	v_cmp_le_u64_e64 s[0:1], s[0:1], v[3:4]
	s_and_saveexec_b64 s[6:7], s[0:1]
	s_xor_b64 s[0:1], exec, s[6:7]
; %bb.10:
	s_mov_b32 s6, 0x16c16c2
	v_mul_hi_u32 v5, v0, s6
	v_mul_u32_u24_e32 v5, 0xb4, v5
	v_sub_u32_e32 v7, v0, v5
	v_add_u32_e32 v8, 0xb4, v7
                                        ; implicit-def: $vgpr0
                                        ; implicit-def: $vgpr5_vgpr6
; %bb.11:
	s_or_saveexec_b64 s[6:7], s[0:1]
                                        ; implicit-def: $vgpr13
                                        ; implicit-def: $vgpr30
                                        ; implicit-def: $vgpr17
                                        ; implicit-def: $vgpr20
                                        ; implicit-def: $vgpr14
                                        ; implicit-def: $vgpr24
                                        ; implicit-def: $vgpr19
                                        ; implicit-def: $vgpr9
                                        ; implicit-def: $vgpr15
                                        ; implicit-def: $vgpr26
                                        ; implicit-def: $vgpr21
                                        ; implicit-def: $vgpr11
                                        ; implicit-def: $vgpr16
                                        ; implicit-def: $vgpr27
                                        ; implicit-def: $vgpr22
                                        ; implicit-def: $vgpr12
                                        ; implicit-def: $vgpr18
                                        ; implicit-def: $vgpr28
                                        ; implicit-def: $vgpr23
                                        ; implicit-def: $vgpr10
	s_xor_b64 exec, exec, s[6:7]
	s_cbranch_execz .LBB0_13
; %bb.12:
	s_add_u32 s0, s16, s10
	s_mov_b32 s10, 0x16c16c2
	v_mul_hi_u32 v7, v0, s10
	s_addc_u32 s1, s17, s11
	s_load_dwordx2 s[0:1], s[0:1], 0x0
	v_lshlrev_b64 v[5:6], 2, v[5:6]
	v_mul_u32_u24_e32 v7, 0xb4, v7
	v_sub_u32_e32 v7, v0, v7
	v_mad_u64_u32 v[9:10], s[10:11], s20, v7, 0
	s_waitcnt lgkmcnt(0)
	v_mul_lo_u32 v8, s1, v3
	v_mul_lo_u32 v15, s0, v4
	v_mad_u64_u32 v[11:12], s[0:1], s0, v3, 0
	v_mov_b32_e32 v0, v10
	v_mad_u64_u32 v[13:14], s[0:1], s21, v7, v[0:1]
	v_add3_u32 v12, v12, v15, v8
	v_lshlrev_b64 v[11:12], 2, v[11:12]
	v_mov_b32_e32 v10, v13
	v_mov_b32_e32 v0, s13
	v_add_co_u32_e64 v13, s[0:1], s12, v11
	v_add_u32_e32 v8, 0xb4, v7
	v_addc_co_u32_e64 v0, s[0:1], v0, v12, s[0:1]
	v_mad_u64_u32 v[11:12], s[0:1], s20, v8, 0
	v_add_co_u32_e64 v25, s[0:1], v13, v5
	v_addc_co_u32_e64 v37, s[0:1], v0, v6, s[0:1]
	v_mov_b32_e32 v0, v12
	v_add_u32_e32 v15, 0x168, v7
	v_lshlrev_b64 v[5:6], 2, v[9:10]
	v_mad_u64_u32 v[9:10], s[0:1], s21, v8, v[0:1]
	v_mad_u64_u32 v[13:14], s[0:1], s20, v15, 0
	v_add_co_u32_e64 v5, s[0:1], v25, v5
	v_mov_b32_e32 v12, v9
	v_mov_b32_e32 v0, v14
	v_addc_co_u32_e64 v6, s[0:1], v37, v6, s[0:1]
	v_lshlrev_b64 v[9:10], 2, v[11:12]
	v_mad_u64_u32 v[11:12], s[0:1], s21, v15, v[0:1]
	v_add_u32_e32 v12, 0x21c, v7
	v_mad_u64_u32 v[15:16], s[0:1], s20, v12, 0
	v_add_co_u32_e64 v17, s[0:1], v25, v9
	v_mov_b32_e32 v14, v11
	v_mov_b32_e32 v0, v16
	v_addc_co_u32_e64 v18, s[0:1], v37, v10, s[0:1]
	v_lshlrev_b64 v[9:10], 2, v[13:14]
	v_mad_u64_u32 v[11:12], s[0:1], s21, v12, v[0:1]
	v_add_u32_e32 v14, 0x2d0, v7
	v_mad_u64_u32 v[12:13], s[0:1], s20, v14, 0
	v_add_co_u32_e64 v19, s[0:1], v25, v9
	v_mov_b32_e32 v0, v13
	v_addc_co_u32_e64 v20, s[0:1], v37, v10, s[0:1]
	v_mov_b32_e32 v16, v11
	v_mad_u64_u32 v[13:14], s[0:1], s21, v14, v[0:1]
	v_add_u32_e32 v11, 0x384, v7
	v_lshlrev_b64 v[9:10], 2, v[15:16]
	v_mad_u64_u32 v[14:15], s[0:1], s20, v11, 0
	v_add_co_u32_e64 v21, s[0:1], v25, v9
	v_mov_b32_e32 v0, v15
	v_addc_co_u32_e64 v22, s[0:1], v37, v10, s[0:1]
	v_lshlrev_b64 v[9:10], 2, v[12:13]
	v_mad_u64_u32 v[11:12], s[0:1], s21, v11, v[0:1]
	v_add_u32_e32 v16, 0x438, v7
	v_mad_u64_u32 v[12:13], s[0:1], s20, v16, 0
	v_add_co_u32_e64 v29, s[0:1], v25, v9
	v_mov_b32_e32 v15, v11
	v_mov_b32_e32 v0, v13
	v_addc_co_u32_e64 v30, s[0:1], v37, v10, s[0:1]
	v_lshlrev_b64 v[9:10], 2, v[14:15]
	v_mad_u64_u32 v[13:14], s[0:1], s21, v16, v[0:1]
	v_add_u32_e32 v11, 0x4ec, v7
	v_mad_u64_u32 v[14:15], s[0:1], s20, v11, 0
	v_add_co_u32_e64 v31, s[0:1], v25, v9
	v_mov_b32_e32 v0, v15
	v_addc_co_u32_e64 v32, s[0:1], v37, v10, s[0:1]
	v_lshlrev_b64 v[9:10], 2, v[12:13]
	v_mad_u64_u32 v[11:12], s[0:1], s21, v11, v[0:1]
	v_add_co_u32_e64 v33, s[0:1], v25, v9
	v_mov_b32_e32 v15, v11
	v_add_u32_e32 v11, 0x5a0, v7
	v_addc_co_u32_e64 v34, s[0:1], v37, v10, s[0:1]
	v_lshlrev_b64 v[9:10], 2, v[14:15]
	v_mad_u64_u32 v[13:14], s[0:1], s20, v11, 0
	v_add_co_u32_e64 v15, s[0:1], v25, v9
	v_mov_b32_e32 v0, v14
	v_add_u32_e32 v38, 0x654, v7
	v_addc_co_u32_e64 v16, s[0:1], v37, v10, s[0:1]
	v_mad_u64_u32 v[23:24], s[0:1], s21, v11, v[0:1]
	v_mad_u64_u32 v[35:36], s[0:1], s20, v38, 0
	v_mov_b32_e32 v14, v23
	global_load_dword v10, v[5:6], off
	global_load_dword v28, v[17:18], off
	;; [unrolled: 1-line block ×8, first 2 shown]
	v_mov_b32_e32 v0, v36
	v_lshlrev_b64 v[5:6], 2, v[13:14]
	v_mad_u64_u32 v[13:14], s[0:1], s21, v38, v[0:1]
	v_add_co_u32_e64 v5, s[0:1], v25, v5
	v_mov_b32_e32 v36, v13
	v_lshlrev_b64 v[13:14], 2, v[35:36]
	v_addc_co_u32_e64 v6, s[0:1], v37, v6, s[0:1]
	v_add_co_u32_e64 v13, s[0:1], v25, v13
	v_addc_co_u32_e64 v14, s[0:1], v37, v14, s[0:1]
	global_load_dword v20, v[5:6], off
	global_load_dword v30, v[13:14], off
	s_waitcnt vmcnt(9)
	v_lshrrev_b32_e32 v23, 16, v10
	s_waitcnt vmcnt(8)
	v_lshrrev_b32_e32 v18, 16, v28
	;; [unrolled: 2-line block ×10, first 2 shown]
.LBB0_13:
	s_or_b64 exec, exec, s[6:7]
	v_sub_f16_e32 v6, v12, v11
	v_sub_f16_e32 v25, v20, v9
	v_add_f16_e32 v6, v25, v6
	v_add_f16_e32 v25, v20, v12
	s_mov_b32 s16, 0xbb9c
	v_sub_f16_e32 v5, v21, v19
	s_movk_i32 s11, 0x3b9c
	v_fma_f16 v25, v25, -0.5, v10
	v_sub_f16_e32 v0, v22, v17
	s_mov_b32 s13, 0xb8b4
	s_movk_i32 s10, 0x38b4
	v_fma_f16 v29, v5, s11, v25
	v_sub_f16_e32 v31, v11, v12
	v_sub_f16_e32 v32, v9, v20
	v_fma_f16 v25, v5, s16, v25
	s_movk_i32 s12, 0x34f2
	v_fma_f16 v29, v0, s13, v29
	v_add_f16_e32 v31, v32, v31
	v_fma_f16 v25, v0, s10, v25
	v_fma_f16 v34, v31, s12, v29
	;; [unrolled: 1-line block ×3, first 2 shown]
	v_sub_f16_e32 v25, v27, v26
	v_sub_f16_e32 v29, v30, v24
	v_add_f16_e32 v35, v29, v25
	v_sub_f16_e32 v25, v26, v27
	v_sub_f16_e32 v29, v24, v30
	v_add_f16_e32 v25, v29, v25
	v_add_f16_e32 v29, v30, v27
	v_fma_f16 v32, v29, -0.5, v28
	v_sub_f16_e32 v37, v15, v14
	v_sub_f16_e32 v36, v16, v13
	v_fma_f16 v29, v37, s11, v32
	v_fma_f16 v32, v37, s16, v32
	;; [unrolled: 1-line block ×6, first 2 shown]
	v_add_f16_e32 v32, v24, v26
	v_fma_f16 v41, v32, -0.5, v28
	v_add_f16_e32 v28, v27, v28
	v_add_f16_e32 v28, v26, v28
	;; [unrolled: 1-line block ×4, first 2 shown]
	v_sub_f16_e32 v27, v27, v30
	v_sub_f16_e32 v24, v26, v24
	;; [unrolled: 1-line block ×4, first 2 shown]
	v_add_f16_e32 v26, v30, v26
	v_sub_f16_e32 v30, v15, v16
	v_sub_f16_e32 v32, v14, v13
	v_add_f16_e32 v30, v32, v30
	v_add_f16_e32 v32, v13, v16
	v_fma_f16 v33, v32, -0.5, v18
	v_fma_f16 v32, v24, s16, v33
	v_fma_f16 v33, v24, s11, v33
	;; [unrolled: 1-line block ×6, first 2 shown]
	v_mul_f16_e32 v30, 0xbb9c, v32
	s_mov_b32 s0, 0xb4f2
	v_mul_f16_e32 v38, 0xbb9c, v33
	v_fma_f16 v30, v29, s12, v30
	v_fma_f16 v43, v25, s0, v38
	v_add_f16_e32 v38, v34, v30
	v_add_f16_e32 v39, v31, v43
	v_pack_b32_f16 v42, v38, v39
	v_add_f16_e32 v38, v9, v11
	v_fma_f16 v44, v38, -0.5, v10
	v_fma_f16 v38, v0, s16, v44
	v_fma_f16 v38, v5, s13, v38
	;; [unrolled: 1-line block ×6, first 2 shown]
	v_add_f16_e32 v38, v14, v15
	v_fma_f16 v46, v38, -0.5, v18
	v_fma_f16 v38, v27, s11, v46
	v_add_f16_e32 v10, v12, v10
	v_fma_f16 v38, v24, s10, v38
	v_add_f16_e32 v10, v11, v10
	;; [unrolled: 2-line block ×3, first 2 shown]
	s_movk_i32 s17, 0x3a79
	v_mul_f16_e32 v38, 0xb8b4, v40
	v_fma_f16 v0, v0, s11, v44
	v_add_f16_e32 v10, v20, v10
	v_fma_f16 v47, v39, s17, v38
	v_fma_f16 v0, v5, s10, v0
	;; [unrolled: 1-line block ×3, first 2 shown]
	v_add_f16_e32 v38, v28, v10
	v_add_f16_e32 v48, v45, v47
	v_fma_f16 v5, v37, s10, v5
	v_pack_b32_f16 v48, v38, v48
	v_mul_u32_u24_e32 v38, 10, v7
	v_fma_f16 v41, v35, s12, v5
	v_fma_f16 v5, v27, s16, v46
	v_lshl_add_u32 v38, v38, 1, 0
	v_fma_f16 v5, v24, s13, v5
	ds_write2_b32 v38, v48, v42 offset1:1
	v_fma_f16 v42, v26, s12, v5
	v_fma_f16 v0, v6, s12, v0
	s_mov_b32 s0, 0xba79
	v_mul_f16_e32 v6, 0xb8b4, v42
	v_fma_f16 v6, v41, s0, v6
	v_sub_f16_e32 v5, v10, v28
	v_sub_f16_e32 v10, v45, v47
	;; [unrolled: 1-line block ×3, first 2 shown]
	v_add_f16_e32 v26, v0, v6
	v_pack_b32_f16 v5, v26, v5
	v_pack_b32_f16 v26, v10, v24
	ds_write2_b32 v38, v5, v26 offset0:2 offset1:3
	v_sub_f16_e32 v28, v31, v43
	v_sub_f16_e32 v26, v0, v6
	s_movk_i32 s0, 0xffee
	v_pack_b32_f16 v0, v28, v26
	v_mad_i32_i24 v5, v7, s0, v38
	ds_write_b32 v38, v0 offset:16
	s_load_dwordx2 s[4:5], s[4:5], 0x0
	s_waitcnt lgkmcnt(0)
	s_barrier
	ds_read_u16 v0, v5
	ds_read_u16 v37, v5 offset:600
	ds_read_u16 v36, v5 offset:1200
	;; [unrolled: 1-line block ×5, first 2 shown]
	s_movk_i32 s0, 0x78
	v_mul_i32_i24_e32 v5, 0xffffffee, v7
	v_cmp_gt_u32_e64 s[0:1], s0, v7
	v_add_u32_e32 v5, v38, v5
	v_lshl_add_u32 v6, v8, 1, 0
                                        ; implicit-def: $vgpr27
                                        ; implicit-def: $vgpr30
	s_and_saveexec_b64 s[6:7], s[0:1]
	s_cbranch_execz .LBB0_15
; %bb.14:
	ds_read_u16 v24, v5 offset:960
	ds_read_u16 v28, v5 offset:1560
	;; [unrolled: 1-line block ×4, first 2 shown]
	ds_read_u16 v10, v6
	ds_read_u16 v27, v5 offset:3360
.LBB0_15:
	s_or_b64 exec, exec, s[6:7]
	v_add_f16_e32 v44, v19, v21
	v_fma_f16 v44, v44, -0.5, v23
	v_sub_f16_e32 v12, v12, v20
	v_fma_f16 v20, v12, s11, v44
	v_sub_f16_e32 v9, v11, v9
	v_fma_f16 v11, v9, s10, v20
	v_sub_f16_e32 v20, v22, v21
	v_sub_f16_e32 v45, v17, v19
	v_fma_f16 v44, v12, s16, v44
	v_add_f16_e32 v20, v45, v20
	v_fma_f16 v44, v9, s13, v44
	v_fma_f16 v11, v20, s12, v11
	;; [unrolled: 1-line block ×3, first 2 shown]
	v_add_f16_e32 v44, v17, v22
	v_add_f16_e32 v43, v22, v23
	v_fma_f16 v23, v44, -0.5, v23
	v_fma_f16 v44, v9, s16, v23
	v_fma_f16 v9, v9, s11, v23
	v_add_f16_e32 v43, v21, v43
	v_fma_f16 v44, v12, s10, v44
	v_fma_f16 v9, v12, s13, v9
	v_add_f16_e32 v12, v16, v18
	v_add_f16_e32 v43, v19, v43
	;; [unrolled: 1-line block ×4, first 2 shown]
	v_sub_f16_e32 v21, v21, v22
	v_sub_f16_e32 v17, v19, v17
	v_add_f16_e32 v12, v14, v12
	v_add_f16_e32 v17, v17, v21
	;; [unrolled: 1-line block ×3, first 2 shown]
	v_mul_f16_e32 v13, 0x38b4, v39
	v_mul_f16_e32 v15, 0x3b9c, v29
	v_mul_f16_e32 v16, 0x34f2, v33
	v_fma_f16 v19, v17, s12, v44
	v_fma_f16 v9, v17, s12, v9
	;; [unrolled: 1-line block ×4, first 2 shown]
	v_fma_f16 v16, v25, s11, -v16
	v_mul_f16_e32 v22, 0x3a79, v42
	v_add_f16_e32 v14, v12, v43
	v_add_f16_e32 v17, v11, v13
	;; [unrolled: 1-line block ×4, first 2 shown]
	v_fma_f16 v22, v41, s10, -v22
	v_add_f16_e32 v23, v20, v22
	v_sub_f16_e32 v25, v43, v12
	v_sub_f16_e32 v12, v11, v13
	;; [unrolled: 1-line block ×4, first 2 shown]
	v_pack_b32_f16 v9, v18, v21
	v_pack_b32_f16 v11, v14, v17
	v_sub_f16_e32 v16, v20, v22
	s_waitcnt lgkmcnt(0)
	s_barrier
	ds_write2_b32 v38, v11, v9 offset1:1
	v_pack_b32_f16 v9, v12, v13
	v_pack_b32_f16 v11, v23, v25
	ds_write2_b32 v38, v11, v9 offset0:2 offset1:3
	v_pack_b32_f16 v9, v15, v16
	ds_write_b32 v38, v9 offset:16
	s_waitcnt lgkmcnt(0)
	s_barrier
	ds_read_u16 v11, v5
	ds_read_u16 v14, v5 offset:600
	ds_read_u16 v20, v5 offset:1200
	ds_read_u16 v19, v5 offset:1800
	ds_read_u16 v23, v5 offset:2400
	ds_read_u16 v22, v5 offset:3000
                                        ; implicit-def: $vgpr9
                                        ; implicit-def: $vgpr18
	s_and_saveexec_b64 s[6:7], s[0:1]
	s_cbranch_execz .LBB0_17
; %bb.16:
	ds_read_u16 v13, v5 offset:960
	ds_read_u16 v15, v5 offset:1560
	;; [unrolled: 1-line block ×4, first 2 shown]
	ds_read_u16 v12, v6
	ds_read_u16 v9, v5 offset:3360
.LBB0_17:
	s_or_b64 exec, exec, s[6:7]
	s_movk_i32 s6, 0xcd
	v_mul_lo_u16_sdwa v17, v7, s6 dst_sel:DWORD dst_unused:UNUSED_PAD src0_sel:BYTE_0 src1_sel:DWORD
	v_lshrrev_b16_e32 v45, 11, v17
	v_mul_lo_u16_e32 v17, 10, v45
	v_sub_u16_e32 v46, v7, v17
	v_mov_b32_e32 v17, 5
	v_mul_u32_u24_sdwa v17, v46, v17 dst_sel:DWORD dst_unused:UNUSED_PAD src0_sel:BYTE_0 src1_sel:DWORD
	v_lshlrev_b32_e32 v25, 2, v17
	global_load_dwordx4 v[38:41], v25, s[8:9]
	s_mov_b32 s6, 0xcccd
	global_load_dword v25, v25, s[8:9] offset:16
	s_mov_b32 s11, 0xbaee
	s_movk_i32 s10, 0x3aee
	s_waitcnt vmcnt(1) lgkmcnt(4)
	v_mul_f16_sdwa v17, v14, v38 dst_sel:DWORD dst_unused:UNUSED_PAD src0_sel:DWORD src1_sel:WORD_1
	v_fma_f16 v42, v37, v38, v17
	v_mul_f16_sdwa v17, v37, v38 dst_sel:DWORD dst_unused:UNUSED_PAD src0_sel:DWORD src1_sel:WORD_1
	v_mul_f16_sdwa v21, v36, v39 dst_sel:DWORD dst_unused:UNUSED_PAD src0_sel:DWORD src1_sel:WORD_1
	v_fma_f16 v14, v14, v38, -v17
	s_waitcnt lgkmcnt(3)
	v_mul_f16_sdwa v17, v20, v39 dst_sel:DWORD dst_unused:UNUSED_PAD src0_sel:DWORD src1_sel:WORD_1
	v_fma_f16 v20, v20, v39, -v21
	s_waitcnt lgkmcnt(2)
	v_mul_f16_sdwa v21, v19, v40 dst_sel:DWORD dst_unused:UNUSED_PAD src0_sel:DWORD src1_sel:WORD_1
	v_fma_f16 v17, v36, v39, v17
	v_fma_f16 v36, v35, v40, v21
	v_mul_f16_sdwa v21, v35, v40 dst_sel:DWORD dst_unused:UNUSED_PAD src0_sel:DWORD src1_sel:WORD_1
	v_mul_f16_sdwa v29, v34, v41 dst_sel:DWORD dst_unused:UNUSED_PAD src0_sel:DWORD src1_sel:WORD_1
	v_fma_f16 v19, v19, v40, -v21
	s_waitcnt lgkmcnt(1)
	v_mul_f16_sdwa v21, v23, v41 dst_sel:DWORD dst_unused:UNUSED_PAD src0_sel:DWORD src1_sel:WORD_1
	v_fma_f16 v23, v23, v41, -v29
	s_waitcnt vmcnt(0) lgkmcnt(0)
	v_mul_f16_sdwa v29, v22, v25 dst_sel:DWORD dst_unused:UNUSED_PAD src0_sel:DWORD src1_sel:WORD_1
	v_fma_f16 v35, v31, v25, v29
	v_mul_f16_sdwa v29, v31, v25 dst_sel:DWORD dst_unused:UNUSED_PAD src0_sel:DWORD src1_sel:WORD_1
	v_fma_f16 v22, v22, v25, -v29
	v_mul_u32_u24_sdwa v25, v8, s6 dst_sel:DWORD dst_unused:UNUSED_PAD src0_sel:WORD_0 src1_sel:DWORD
	v_lshrrev_b32_e32 v47, 19, v25
	v_mul_lo_u16_e32 v25, 10, v47
	v_sub_u16_e32 v48, v8, v25
	v_mul_u32_u24_e32 v25, 5, v48
	v_lshlrev_b32_e32 v37, 2, v25
	v_fma_f16 v21, v34, v41, v21
	global_load_dwordx4 v[31:34], v37, s[8:9]
	s_waitcnt vmcnt(0)
	v_mul_f16_sdwa v25, v13, v31 dst_sel:DWORD dst_unused:UNUSED_PAD src0_sel:DWORD src1_sel:WORD_1
	v_fma_f16 v29, v24, v31, v25
	v_mul_f16_sdwa v24, v24, v31 dst_sel:DWORD dst_unused:UNUSED_PAD src0_sel:DWORD src1_sel:WORD_1
	v_fma_f16 v13, v13, v31, -v24
	v_mul_f16_sdwa v24, v15, v32 dst_sel:DWORD dst_unused:UNUSED_PAD src0_sel:DWORD src1_sel:WORD_1
	v_fma_f16 v25, v28, v32, v24
	v_mul_f16_sdwa v24, v28, v32 dst_sel:DWORD dst_unused:UNUSED_PAD src0_sel:DWORD src1_sel:WORD_1
	v_fma_f16 v15, v15, v32, -v24
	;; [unrolled: 4-line block ×4, first 2 shown]
	global_load_dword v24, v37, s[8:9] offset:16
	v_sub_f16_e32 v32, v19, v22
	s_waitcnt vmcnt(0)
	s_barrier
	v_mul_f16_sdwa v30, v9, v24 dst_sel:DWORD dst_unused:UNUSED_PAD src0_sel:DWORD src1_sel:WORD_1
	v_fma_f16 v30, v27, v24, v30
	v_mul_f16_sdwa v27, v27, v24 dst_sel:DWORD dst_unused:UNUSED_PAD src0_sel:DWORD src1_sel:WORD_1
	v_fma_f16 v24, v9, v24, -v27
	v_add_f16_e32 v27, v17, v21
	v_add_f16_e32 v9, v0, v17
	v_fma_f16 v0, v27, -0.5, v0
	v_sub_f16_e32 v27, v20, v23
	v_fma_f16 v34, v27, s11, v0
	v_fma_f16 v0, v27, s10, v0
	v_add_f16_e32 v27, v42, v36
	v_add_f16_e32 v37, v27, v35
	;; [unrolled: 1-line block ×3, first 2 shown]
	v_fma_f16 v27, v27, -0.5, v42
	v_fma_f16 v31, v32, s11, v27
	v_fma_f16 v27, v32, s10, v27
	v_add_f16_e32 v32, v19, v22
	v_fma_f16 v32, v32, -0.5, v14
	v_sub_f16_e32 v35, v36, v35
	v_fma_f16 v33, v35, s10, v32
	v_fma_f16 v32, v35, s11, v32
	v_mul_f16_e32 v38, 0xbaee, v32
	v_fma_f16 v38, v27, -0.5, v38
	v_add_f16_e32 v9, v9, v21
	v_add_f16_e32 v50, v0, v38
	v_sub_f16_e32 v52, v0, v38
	v_add_f16_e32 v0, v25, v26
	v_add_f16_e32 v35, v9, v37
	v_sub_f16_e32 v51, v9, v37
	v_fma_f16 v0, v0, -0.5, v10
	v_sub_f16_e32 v9, v15, v18
	v_fma_f16 v41, v9, s11, v0
	v_fma_f16 v42, v9, s10, v0
	v_add_f16_e32 v0, v28, v30
	v_fma_f16 v0, v0, -0.5, v29
	v_sub_f16_e32 v9, v16, v24
	v_fma_f16 v38, v9, s11, v0
	v_fma_f16 v37, v9, s10, v0
	v_add_f16_e32 v0, v16, v24
	v_mul_f16_e32 v36, 0xbaee, v33
	v_fma_f16 v0, v0, -0.5, v13
	v_sub_f16_e32 v9, v28, v30
	v_fma_f16 v36, v31, 0.5, v36
	v_fma_f16 v40, v9, s10, v0
	v_add_f16_e32 v49, v34, v36
	v_sub_f16_e32 v34, v34, v36
	v_fma_f16 v39, v9, s11, v0
	v_mul_f16_e32 v0, 0xbaee, v40
	v_mul_u32_u24_e32 v36, 0x78, v45
	v_mov_b32_e32 v45, 1
	v_fma_f16 v43, v38, 0.5, v0
	v_mul_f16_e32 v0, 0xbaee, v39
	v_lshlrev_b32_sdwa v45, v45, v46 dst_sel:DWORD dst_unused:UNUSED_PAD src0_sel:DWORD src1_sel:BYTE_0
	v_fma_f16 v44, v37, -0.5, v0
	v_add3_u32 v36, 0, v36, v45
	v_sub_f16_e32 v9, v41, v43
	v_sub_f16_e32 v0, v42, v44
	ds_write_b16 v36, v35
	ds_write_b16 v36, v49 offset:20
	ds_write_b16 v36, v50 offset:40
	ds_write_b16 v36, v51 offset:60
	ds_write_b16 v36, v34 offset:80
	ds_write_b16 v36, v52 offset:100
	v_mul_lo_u16_e32 v34, 60, v47
	v_lshlrev_b32_e32 v35, 1, v48
	s_and_saveexec_b64 s[6:7], s[0:1]
	s_cbranch_execz .LBB0_19
; %bb.18:
	v_add_f16_e32 v10, v10, v25
	v_add_f16_e32 v28, v29, v28
	v_add_f16_e32 v10, v10, v26
	v_add_f16_e32 v28, v28, v30
	v_sub_f16_e32 v29, v10, v28
	v_add_f16_e32 v10, v10, v28
	v_lshlrev_b32_e32 v28, 1, v34
	v_add3_u32 v28, 0, v35, v28
	v_add_f16_e32 v30, v42, v44
	v_add_f16_e32 v41, v41, v43
	ds_write_b16 v28, v10
	ds_write_b16 v28, v41 offset:20
	ds_write_b16 v28, v30 offset:40
	;; [unrolled: 1-line block ×5, first 2 shown]
.LBB0_19:
	s_or_b64 exec, exec, s[6:7]
	v_add_f16_e32 v10, v11, v20
	v_add_f16_e32 v20, v20, v23
	v_fma_f16 v11, v20, -0.5, v11
	v_sub_f16_e32 v17, v17, v21
	v_add_f16_e32 v14, v14, v19
	v_add_f16_e32 v10, v10, v23
	v_fma_f16 v20, v17, s10, v11
	v_fma_f16 v11, v17, s11, v11
	v_add_f16_e32 v14, v14, v22
	v_mul_f16_e32 v17, 0.5, v33
	v_mul_f16_e32 v19, -0.5, v32
	v_add_f16_e32 v41, v10, v14
	v_fma_f16 v17, v31, s10, v17
	v_fma_f16 v19, v27, s10, v19
	v_sub_f16_e32 v43, v10, v14
	v_lshl_add_u32 v14, v7, 1, 0
	v_add_f16_e32 v33, v20, v17
	v_add_f16_e32 v42, v11, v19
	v_sub_f16_e32 v44, v20, v17
	v_sub_f16_e32 v45, v11, v19
	;; [unrolled: 1-line block ×3, first 2 shown]
	s_waitcnt lgkmcnt(0)
	s_barrier
	ds_read_u16 v25, v14 offset:720
	ds_read_u16 v26, v5 offset:1440
	;; [unrolled: 1-line block ×6, first 2 shown]
	ds_read_u16 v17, v5
	ds_read_u16 v28, v14 offset:1080
	ds_read_u16 v27, v6
	ds_read_u16 v22, v5 offset:3240
	v_add_f16_e32 v10, v15, v18
	v_fma_f16 v10, v10, -0.5, v12
	v_fma_f16 v29, v11, s10, v10
	v_fma_f16 v30, v11, s11, v10
	v_mul_f16_e32 v10, 0.5, v40
	v_fma_f16 v31, v38, s10, v10
	v_mul_f16_e32 v10, -0.5, v39
	v_fma_f16 v32, v37, s10, v10
	v_sub_f16_e32 v11, v29, v31
	v_sub_f16_e32 v10, v30, v32
	s_waitcnt lgkmcnt(0)
	s_barrier
	ds_write_b16 v36, v41
	ds_write_b16 v36, v33 offset:20
	ds_write_b16 v36, v42 offset:40
	;; [unrolled: 1-line block ×5, first 2 shown]
	s_and_saveexec_b64 s[6:7], s[0:1]
	s_cbranch_execz .LBB0_21
; %bb.20:
	v_add_f16_e32 v12, v12, v15
	v_add_f16_e32 v13, v13, v16
	;; [unrolled: 1-line block ×5, first 2 shown]
	v_sub_f16_e32 v12, v12, v13
	v_lshlrev_b32_e32 v13, 1, v34
	v_add3_u32 v13, 0, v35, v13
	v_add_f16_e32 v16, v29, v31
	v_add_f16_e32 v18, v30, v32
	ds_write_b16 v13, v15
	ds_write_b16 v13, v16 offset:20
	ds_write_b16 v13, v18 offset:40
	;; [unrolled: 1-line block ×5, first 2 shown]
.LBB0_21:
	s_or_b64 exec, exec, s[6:7]
	s_movk_i32 s0, 0x89
	v_mul_lo_u16_sdwa v12, v7, s0 dst_sel:DWORD dst_unused:UNUSED_PAD src0_sel:BYTE_0 src1_sel:DWORD
	v_lshrrev_b16_e32 v15, 13, v12
	v_mul_lo_u16_e32 v12, 60, v15
	v_sub_u16_e32 v16, v7, v12
	v_mov_b32_e32 v12, 9
	v_mul_u32_u24_sdwa v12, v16, v12 dst_sel:DWORD dst_unused:UNUSED_PAD src0_sel:BYTE_0 src1_sel:DWORD
	v_lshlrev_b32_e32 v12, 2, v12
	s_waitcnt lgkmcnt(0)
	s_barrier
	global_load_dwordx4 v[29:32], v12, s[8:9] offset:200
	global_load_dwordx4 v[35:38], v12, s[8:9] offset:216
	global_load_dword v18, v12, s[8:9] offset:232
	ds_read_u16 v12, v14 offset:720
	ds_read_u16 v34, v14 offset:1080
	ds_read_u16 v13, v5
	ds_read_u16 v39, v5 offset:1440
	ds_read_u16 v40, v5 offset:1800
	ds_read_u16 v41, v5 offset:2160
	ds_read_u16 v42, v5 offset:2520
	ds_read_u16 v43, v5 offset:2880
	ds_read_u16 v24, v6
	ds_read_u16 v44, v5 offset:3240
	s_mov_b32 s13, 0xbb9c
	s_movk_i32 s11, 0x3b9c
	s_mov_b32 s12, 0xb8b4
	s_movk_i32 s10, 0x38b4
	s_movk_i32 s16, 0x34f2
	;; [unrolled: 1-line block ×3, first 2 shown]
	v_mul_u32_u24_e32 v15, 0x4b0, v15
	s_waitcnt vmcnt(0) lgkmcnt(0)
	s_barrier
	v_mul_f16_sdwa v33, v24, v29 dst_sel:DWORD dst_unused:UNUSED_PAD src0_sel:DWORD src1_sel:WORD_1
	v_mul_f16_sdwa v46, v12, v30 dst_sel:DWORD dst_unused:UNUSED_PAD src0_sel:DWORD src1_sel:WORD_1
	;; [unrolled: 1-line block ×14, first 2 shown]
	v_fma_f16 v62, v27, v29, v33
	v_fma_f16 v33, v25, v30, v46
	v_fma_f16 v27, v12, v30, -v47
	v_fma_f16 v12, v28, v31, v48
	v_fma_f16 v25, v34, v31, -v49
	v_fma_f16 v34, v26, v32, v50
	v_fma_f16 v23, v23, v35, v52
	v_fma_f16 v26, v40, v35, -v53
	v_fma_f16 v35, v21, v36, v54
	v_fma_f16 v31, v41, v36, -v55
	v_fma_f16 v36, v19, v38, v58
	v_mul_f16_sdwa v56, v42, v37 dst_sel:DWORD dst_unused:UNUSED_PAD src0_sel:DWORD src1_sel:WORD_1
	v_mul_f16_sdwa v57, v20, v37 dst_sel:DWORD dst_unused:UNUSED_PAD src0_sel:DWORD src1_sel:WORD_1
	;; [unrolled: 1-line block ×4, first 2 shown]
	v_fma_f16 v24, v24, v29, -v45
	v_fma_f16 v29, v39, v32, -v51
	;; [unrolled: 1-line block ×3, first 2 shown]
	v_add_f16_e32 v21, v34, v35
	v_add_f16_e32 v40, v33, v36
	v_fma_f16 v20, v20, v37, v56
	v_fma_f16 v28, v42, v37, -v57
	v_fma_f16 v19, v22, v18, v60
	v_fma_f16 v30, v44, v18, -v61
	v_add_f16_e32 v18, v17, v33
	v_sub_f16_e32 v22, v27, v32
	v_sub_f16_e32 v37, v29, v31
	;; [unrolled: 1-line block ×6, first 2 shown]
	v_fma_f16 v21, v21, -0.5, v17
	v_fma_f16 v17, v40, -0.5, v17
	v_add_f16_e32 v38, v38, v39
	v_add_f16_e32 v39, v41, v42
	v_fma_f16 v40, v22, s13, v21
	v_fma_f16 v21, v22, s11, v21
	;; [unrolled: 1-line block ×3, first 2 shown]
	v_add_f16_e32 v43, v62, v12
	v_fma_f16 v17, v37, s13, v17
	v_fma_f16 v40, v37, s12, v40
	;; [unrolled: 1-line block ×5, first 2 shown]
	v_add_f16_e32 v37, v43, v23
	v_add_f16_e32 v37, v37, v20
	;; [unrolled: 1-line block ×4, first 2 shown]
	v_fma_f16 v17, v22, s10, v17
	v_fma_f16 v22, v38, s16, v40
	v_fma_f16 v37, v37, -0.5, v62
	v_sub_f16_e32 v40, v25, v30
	v_fma_f16 v21, v38, s16, v21
	v_fma_f16 v17, v39, s16, v17
	v_fma_f16 v38, v40, s13, v37
	v_sub_f16_e32 v41, v26, v28
	v_sub_f16_e32 v39, v12, v23
	;; [unrolled: 1-line block ×3, first 2 shown]
	v_fma_f16 v37, v40, s11, v37
	v_fma_f16 v38, v41, s12, v38
	v_add_f16_e32 v39, v39, v42
	v_fma_f16 v37, v41, s10, v37
	v_fma_f16 v38, v39, s16, v38
	;; [unrolled: 1-line block ×3, first 2 shown]
	v_add_f16_e32 v39, v12, v19
	v_fma_f16 v42, v39, -0.5, v62
	v_fma_f16 v39, v41, s11, v42
	v_fma_f16 v41, v41, s13, v42
	;; [unrolled: 1-line block ×4, first 2 shown]
	v_add_f16_e32 v41, v26, v28
	v_sub_f16_e32 v43, v23, v12
	v_fma_f16 v41, v41, -0.5, v24
	v_sub_f16_e32 v12, v12, v19
	v_sub_f16_e32 v44, v20, v19
	v_fma_f16 v19, v12, s11, v41
	v_sub_f16_e32 v20, v23, v20
	v_sub_f16_e32 v23, v25, v26
	;; [unrolled: 1-line block ×3, first 2 shown]
	v_fma_f16 v19, v20, s10, v19
	v_add_f16_e32 v23, v23, v42
	v_fma_f16 v42, v23, s16, v19
	v_fma_f16 v19, v12, s13, v41
	;; [unrolled: 1-line block ×4, first 2 shown]
	v_add_f16_e32 v19, v25, v30
	v_add_f16_e32 v43, v43, v44
	v_fma_f16 v19, v19, -0.5, v24
	v_fma_f16 v39, v43, s16, v39
	v_fma_f16 v40, v43, s16, v40
	;; [unrolled: 1-line block ×3, first 2 shown]
	v_sub_f16_e32 v43, v26, v25
	v_sub_f16_e32 v44, v28, v30
	v_fma_f16 v19, v20, s11, v19
	v_fma_f16 v23, v12, s10, v23
	v_add_f16_e32 v44, v43, v44
	v_fma_f16 v12, v12, s12, v19
	v_fma_f16 v43, v44, s16, v23
	;; [unrolled: 1-line block ×3, first 2 shown]
	v_mul_f16_e32 v12, 0xb8b4, v42
	v_fma_f16 v12, v38, s0, v12
	v_mul_f16_e32 v48, 0xbb9c, v44
	s_mov_b32 s0, 0xb4f2
	v_fma_f16 v48, v40, s0, v48
	v_mul_f16_e32 v50, 0xb8b4, v41
	s_mov_b32 s0, 0xba79
	v_add_f16_e32 v18, v18, v34
	v_fma_f16 v50, v37, s0, v50
	v_add_f16_e32 v18, v18, v35
	v_add_f16_e32 v20, v22, v12
	v_mul_f16_e32 v23, 0xbb9c, v43
	v_add_f16_e32 v51, v21, v50
	v_sub_f16_e32 v22, v22, v12
	v_sub_f16_e32 v12, v21, v50
	v_mov_b32_e32 v21, 1
	v_add_f16_e32 v18, v18, v36
	v_fma_f16 v23, v39, s16, v23
	v_lshlrev_b32_sdwa v16, v21, v16 dst_sel:DWORD dst_unused:UNUSED_PAD src0_sel:DWORD src1_sel:BYTE_0
	v_add_f16_e32 v19, v18, v46
	v_add_f16_e32 v47, v45, v23
	;; [unrolled: 1-line block ×3, first 2 shown]
	v_sub_f16_e32 v18, v18, v46
	v_sub_f16_e32 v23, v45, v23
	;; [unrolled: 1-line block ×3, first 2 shown]
	v_add3_u32 v45, 0, v15, v16
	ds_write_b16 v45, v19
	ds_write_b16 v45, v20 offset:120
	ds_write_b16 v45, v47 offset:240
	;; [unrolled: 1-line block ×9, first 2 shown]
	s_waitcnt lgkmcnt(0)
	s_barrier
	ds_read_u16 v16, v6
	ds_read_u16 v17, v5 offset:1200
	ds_read_u16 v19, v5 offset:1560
	;; [unrolled: 1-line block ×6, first 2 shown]
	ds_read_u16 v15, v5
	ds_read_u16 v21, v14 offset:720
	v_cmp_gt_u32_e64 s[0:1], 60, v7
	s_and_saveexec_b64 s[6:7], s[0:1]
	s_cbranch_execz .LBB0_23
; %bb.22:
	ds_read_u16 v12, v14 offset:1080
	ds_read_u16 v9, v5 offset:2280
	ds_read_u16 v0, v5 offset:3480
.LBB0_23:
	s_or_b64 exec, exec, s[6:7]
	v_add_f16_e32 v47, v29, v31
	v_fma_f16 v47, v47, -0.5, v13
	v_sub_f16_e32 v33, v33, v36
	v_fma_f16 v36, v33, s11, v47
	v_sub_f16_e32 v34, v34, v35
	v_fma_f16 v35, v34, s10, v36
	v_sub_f16_e32 v36, v27, v29
	v_sub_f16_e32 v48, v32, v31
	v_fma_f16 v47, v33, s13, v47
	v_add_f16_e32 v36, v36, v48
	v_fma_f16 v47, v34, s12, v47
	v_fma_f16 v35, v36, s16, v35
	;; [unrolled: 1-line block ×3, first 2 shown]
	v_add_f16_e32 v47, v27, v32
	v_add_f16_e32 v46, v13, v27
	v_fma_f16 v13, v47, -0.5, v13
	v_add_f16_e32 v24, v24, v25
	v_add_f16_e32 v46, v46, v29
	v_fma_f16 v47, v34, s13, v13
	v_sub_f16_e32 v27, v29, v27
	v_sub_f16_e32 v29, v31, v32
	v_fma_f16 v13, v34, s11, v13
	v_add_f16_e32 v24, v24, v26
	v_add_f16_e32 v46, v46, v31
	v_fma_f16 v47, v33, s10, v47
	v_add_f16_e32 v27, v27, v29
	v_fma_f16 v13, v33, s12, v13
	v_add_f16_e32 v24, v24, v28
	v_mul_f16_e32 v26, 0x3a79, v42
	v_mul_f16_e32 v28, 0x34f2, v43
	;; [unrolled: 1-line block ×3, first 2 shown]
	v_add_f16_e32 v46, v46, v32
	v_fma_f16 v29, v27, s16, v47
	v_fma_f16 v13, v27, s16, v13
	v_add_f16_e32 v24, v24, v30
	v_fma_f16 v26, v38, s10, v26
	v_fma_f16 v28, v39, s11, v28
	v_fma_f16 v31, v40, s11, -v31
	v_mul_f16_e32 v33, 0x3a79, v41
	v_add_f16_e32 v25, v46, v24
	v_add_f16_e32 v27, v35, v26
	;; [unrolled: 1-line block ×4, first 2 shown]
	v_fma_f16 v33, v37, s10, -v33
	v_sub_f16_e32 v24, v46, v24
	v_sub_f16_e32 v26, v35, v26
	;; [unrolled: 1-line block ×4, first 2 shown]
	v_add_f16_e32 v34, v36, v33
	v_sub_f16_e32 v13, v36, v33
	s_waitcnt lgkmcnt(0)
	s_barrier
	ds_write_b16 v45, v25
	ds_write_b16 v45, v27 offset:120
	ds_write_b16 v45, v30 offset:240
	;; [unrolled: 1-line block ×9, first 2 shown]
	s_waitcnt lgkmcnt(0)
	s_barrier
	ds_read_u16 v24, v6
	ds_read_u16 v26, v5 offset:1200
	ds_read_u16 v28, v5 offset:1560
	;; [unrolled: 1-line block ×6, first 2 shown]
	ds_read_u16 v25, v5
	ds_read_u16 v30, v14 offset:720
	s_and_saveexec_b64 s[6:7], s[0:1]
	s_cbranch_execz .LBB0_25
; %bb.24:
	ds_read_u16 v13, v14 offset:1080
	ds_read_u16 v11, v5 offset:2280
	;; [unrolled: 1-line block ×3, first 2 shown]
.LBB0_25:
	s_or_b64 exec, exec, s[6:7]
	s_and_saveexec_b64 s[6:7], vcc
	s_cbranch_execz .LBB0_28
; %bb.26:
	v_lshlrev_b32_e32 v33, 1, v7
	v_add_u32_e32 v5, 0x2d0, v33
	v_mov_b32_e32 v6, 0
	v_lshlrev_b64 v[34:35], 2, v[5:6]
	v_mov_b32_e32 v14, s9
	v_add_co_u32_e32 v34, vcc, s8, v34
	v_lshlrev_b32_e32 v5, 1, v8
	v_addc_co_u32_e32 v35, vcc, v14, v35, vcc
	v_lshlrev_b64 v[37:38], 2, v[5:6]
	global_load_dwordx2 v[35:36], v[34:35], off offset:2360
	v_mov_b32_e32 v34, v6
	v_add_co_u32_e32 v37, vcc, s8, v37
	v_lshlrev_b64 v[33:34], 2, v[33:34]
	v_addc_co_u32_e32 v38, vcc, v14, v38, vcc
	v_add_co_u32_e32 v33, vcc, s8, v33
	v_addc_co_u32_e32 v34, vcc, v14, v34, vcc
	global_load_dwordx2 v[37:38], v[37:38], off offset:2360
	v_mul_lo_u32 v5, s5, v3
	global_load_dwordx2 v[33:34], v[33:34], off offset:2360
	v_mul_lo_u32 v8, s4, v4
	v_mad_u64_u32 v[3:4], s[4:5], s4, v3, 0
	s_mov_b32 s10, 0x1b4e81b5
	v_mul_hi_u32 v14, v7, s10
	v_add3_u32 v4, v4, v8, v5
	s_mov_b32 s4, 0xbaee
	s_movk_i32 s5, 0x3aee
	v_lshrrev_b32_e32 v14, 6, v14
	v_mul_u32_u24_e32 v14, 0x258, v14
	v_lshlrev_b64 v[3:4], 2, v[3:4]
	v_lshlrev_b64 v[1:2], 2, v[1:2]
	s_movk_i32 s12, 0x708
	s_movk_i32 s11, 0x258
	s_waitcnt vmcnt(2)
	v_mul_f16_sdwa v5, v23, v35 dst_sel:DWORD dst_unused:UNUSED_PAD src0_sel:DWORD src1_sel:WORD_1
	v_mul_f16_sdwa v8, v22, v36 dst_sel:DWORD dst_unused:UNUSED_PAD src0_sel:DWORD src1_sel:WORD_1
	s_waitcnt lgkmcnt(2)
	v_mul_f16_sdwa v39, v32, v35 dst_sel:DWORD dst_unused:UNUSED_PAD src0_sel:DWORD src1_sel:WORD_1
	v_mul_f16_sdwa v40, v31, v36 dst_sel:DWORD dst_unused:UNUSED_PAD src0_sel:DWORD src1_sel:WORD_1
	v_fma_f16 v5, v32, v35, -v5
	v_fma_f16 v8, v31, v36, -v8
	v_fma_f16 v23, v23, v35, v39
	v_fma_f16 v22, v22, v36, v40
	v_add_f16_e32 v43, v5, v8
	v_sub_f16_e32 v44, v23, v22
	v_add_f16_e32 v46, v23, v22
	s_waitcnt vmcnt(1)
	v_mul_f16_sdwa v35, v28, v37 dst_sel:DWORD dst_unused:UNUSED_PAD src0_sel:DWORD src1_sel:WORD_1
	v_mul_f16_sdwa v36, v29, v38 dst_sel:DWORD dst_unused:UNUSED_PAD src0_sel:DWORD src1_sel:WORD_1
	s_waitcnt vmcnt(0)
	v_mul_f16_sdwa v39, v17, v33 dst_sel:DWORD dst_unused:UNUSED_PAD src0_sel:DWORD src1_sel:WORD_1
	v_mul_f16_sdwa v40, v18, v34 dst_sel:DWORD dst_unused:UNUSED_PAD src0_sel:DWORD src1_sel:WORD_1
	;; [unrolled: 1-line block ×6, first 2 shown]
	v_fma_f16 v19, v19, v37, v35
	v_fma_f16 v20, v20, v38, v36
	v_fma_f16 v26, v26, v33, -v39
	v_fma_f16 v27, v27, v34, -v40
	v_add_f16_e32 v23, v21, v23
	v_fma_f16 v28, v28, v37, -v31
	v_fma_f16 v29, v29, v38, -v32
	v_fma_f16 v31, v17, v33, v41
	v_fma_f16 v32, v18, v34, v42
	s_waitcnt lgkmcnt(0)
	v_fma_f16 v17, v43, -0.5, v30
	v_add_f16_e32 v33, v19, v20
	v_add_f16_e32 v34, v26, v27
	;; [unrolled: 1-line block ×3, first 2 shown]
	v_sub_f16_e32 v5, v5, v8
	v_fma_f16 v18, v46, -0.5, v21
	v_add_f16_e32 v21, v23, v22
	v_add_f16_e32 v22, v28, v29
	v_sub_f16_e32 v23, v19, v20
	v_add_f16_e32 v30, v24, v28
	v_sub_f16_e32 v28, v28, v29
	;; [unrolled: 2-line block ×3, first 2 shown]
	v_fma_f16 v37, v44, s4, v17
	v_fma_f16 v38, v44, s5, v17
	v_fma_f16 v16, v33, -0.5, v16
	v_fma_f16 v17, v34, -0.5, v25
	v_sub_u32_e32 v33, v7, v14
	v_add_f16_e32 v36, v25, v26
	v_fma_f16 v39, v5, s5, v18
	v_fma_f16 v40, v5, s4, v18
	v_fma_f16 v5, v22, -0.5, v24
	v_add_f16_e32 v22, v30, v29
	v_fma_f16 v24, v28, s5, v16
	v_fma_f16 v25, v28, s4, v16
	;; [unrolled: 1-line block ×4, first 2 shown]
	v_mad_u64_u32 v[16:17], s[6:7], s2, v33, 0
	v_add_f16_e32 v19, v19, v20
	v_fma_f16 v20, v23, s4, v5
	v_fma_f16 v23, v23, s5, v5
	v_add_f16_e32 v5, v31, v32
	v_fma_f16 v5, v5, -0.5, v15
	v_sub_f16_e32 v14, v26, v27
	v_add_f16_e32 v30, v36, v27
	v_fma_f16 v26, v14, s5, v5
	v_fma_f16 v27, v14, s4, v5
	v_mov_b32_e32 v5, v17
	v_mad_u64_u32 v[17:18], s[6:7], s3, v33, v[5:6]
	v_add_f16_e32 v5, v15, v31
	v_add_f16_e32 v18, v5, v32
	v_mov_b32_e32 v5, s15
	v_add_co_u32_e32 v14, vcc, s14, v3
	v_add_u32_e32 v31, 0x258, v33
	v_addc_co_u32_e32 v5, vcc, v5, v4, vcc
	v_mad_u64_u32 v[3:4], s[6:7], s2, v31, 0
	v_add_co_u32_e32 v1, vcc, v14, v1
	v_lshlrev_b64 v[14:15], 2, v[16:17]
	v_addc_co_u32_e32 v2, vcc, v5, v2, vcc
	v_mad_u64_u32 v[4:5], s[6:7], s3, v31, v[4:5]
	v_add_co_u32_e32 v14, vcc, v1, v14
	v_addc_co_u32_e32 v15, vcc, v2, v15, vcc
	v_pack_b32_f16 v5, v18, v30
	v_add_u32_e32 v16, 0x4b0, v33
	global_store_dword v[14:15], v5, off
	v_mad_u64_u32 v[14:15], s[6:7], s2, v16, 0
	v_lshlrev_b64 v[3:4], 2, v[3:4]
	v_pack_b32_f16 v17, v27, v29
	v_mov_b32_e32 v5, v15
	v_mad_u64_u32 v[15:16], s[6:7], s3, v16, v[5:6]
	v_add_u32_e32 v5, 0xb4, v7
	v_mul_hi_u32 v16, v5, s10
	v_add_co_u32_e32 v3, vcc, v1, v3
	v_addc_co_u32_e32 v4, vcc, v2, v4, vcc
	global_store_dword v[3:4], v17, off
	v_lshlrev_b64 v[3:4], 2, v[14:15]
	v_lshrrev_b32_e32 v14, 6, v16
	v_mul_u32_u24_e32 v15, 0x258, v14
	v_sub_u32_e32 v5, v5, v15
	v_mad_u32_u24 v18, v14, s12, v5
	v_mad_u64_u32 v[14:15], s[6:7], s2, v18, 0
	v_add_u32_e32 v27, 0x258, v18
	v_add_co_u32_e32 v3, vcc, v1, v3
	v_mov_b32_e32 v5, v15
	v_mad_u64_u32 v[15:16], s[6:7], s3, v18, v[5:6]
	v_mad_u64_u32 v[16:17], s[6:7], s2, v27, 0
	v_addc_co_u32_e32 v4, vcc, v2, v4, vcc
	v_pack_b32_f16 v26, v26, v28
	v_mov_b32_e32 v5, v17
	global_store_dword v[3:4], v26, off
	v_lshlrev_b64 v[3:4], 2, v[14:15]
	v_mad_u64_u32 v[14:15], s[6:7], s3, v27, v[5:6]
	v_add_co_u32_e32 v3, vcc, v1, v3
	v_addc_co_u32_e32 v4, vcc, v2, v4, vcc
	v_pack_b32_f16 v5, v19, v22
	v_mov_b32_e32 v17, v14
	global_store_dword v[3:4], v5, off
	v_lshlrev_b64 v[3:4], 2, v[16:17]
	v_add_u32_e32 v16, 0x4b0, v18
	v_mad_u64_u32 v[14:15], s[6:7], s2, v16, 0
	v_add_u32_e32 v17, 0x168, v7
	v_mul_hi_u32 v19, v17, s10
	v_mov_b32_e32 v5, v15
	v_mad_u64_u32 v[15:16], s[6:7], s3, v16, v[5:6]
	v_lshrrev_b32_e32 v5, 6, v19
	v_mul_u32_u24_e32 v16, 0x258, v5
	v_sub_u32_e32 v16, v17, v16
	v_mad_u32_u24 v19, v5, s12, v16
	v_mad_u64_u32 v[16:17], s[6:7], s2, v19, 0
	v_add_co_u32_e32 v3, vcc, v1, v3
	v_addc_co_u32_e32 v4, vcc, v2, v4, vcc
	v_pack_b32_f16 v18, v25, v23
	v_mov_b32_e32 v5, v17
	global_store_dword v[3:4], v18, off
	v_lshlrev_b64 v[3:4], 2, v[14:15]
	v_mad_u64_u32 v[14:15], s[6:7], s3, v19, v[5:6]
	v_add_co_u32_e32 v3, vcc, v1, v3
	v_addc_co_u32_e32 v4, vcc, v2, v4, vcc
	v_pack_b32_f16 v5, v24, v20
	v_mov_b32_e32 v17, v14
	global_store_dword v[3:4], v5, off
	v_lshlrev_b64 v[3:4], 2, v[16:17]
	v_add_u32_e32 v16, 0x258, v19
	v_mad_u64_u32 v[14:15], s[6:7], s2, v16, 0
	v_add_u32_e32 v18, 0x4b0, v19
	v_add_f16_e32 v8, v45, v8
	v_mov_b32_e32 v5, v15
	v_mad_u64_u32 v[15:16], s[6:7], s3, v16, v[5:6]
	v_mad_u64_u32 v[16:17], s[6:7], s2, v18, 0
	v_add_co_u32_e32 v3, vcc, v1, v3
	v_addc_co_u32_e32 v4, vcc, v2, v4, vcc
	v_pack_b32_f16 v8, v21, v8
	v_mov_b32_e32 v5, v17
	global_store_dword v[3:4], v8, off
	v_lshlrev_b64 v[3:4], 2, v[14:15]
	v_mad_u64_u32 v[14:15], s[6:7], s3, v18, v[5:6]
	v_add_co_u32_e32 v3, vcc, v1, v3
	v_addc_co_u32_e32 v4, vcc, v2, v4, vcc
	v_pack_b32_f16 v5, v40, v38
	v_mov_b32_e32 v17, v14
	global_store_dword v[3:4], v5, off
	v_lshlrev_b64 v[3:4], 2, v[16:17]
	v_pack_b32_f16 v5, v39, v37
	v_add_co_u32_e32 v3, vcc, v1, v3
	v_addc_co_u32_e32 v4, vcc, v2, v4, vcc
	global_store_dword v[3:4], v5, off
	v_add_u32_e32 v3, 0x21c, v7
	v_cmp_gt_u32_e32 vcc, s11, v3
	s_and_b64 exec, exec, vcc
	s_cbranch_execz .LBB0_28
; %bb.27:
	v_not_b32_e32 v4, 59
	v_mov_b32_e32 v5, 0x21c
	v_cndmask_b32_e64 v4, v4, v5, s[0:1]
	v_add_lshl_u32 v5, v7, v4, 1
	v_lshlrev_b64 v[4:5], 2, v[5:6]
	v_mov_b32_e32 v6, s9
	v_add_co_u32_e32 v4, vcc, s8, v4
	v_addc_co_u32_e32 v5, vcc, v6, v5, vcc
	global_load_dwordx2 v[4:5], v[4:5], off offset:2360
	v_mad_u64_u32 v[14:15], s[0:1], s2, v3, 0
	v_add_u32_e32 v20, 0x474, v7
	v_add_u32_e32 v21, 0x6cc, v7
	v_mad_u64_u32 v[6:7], s[0:1], s2, v20, 0
	v_mad_u64_u32 v[16:17], s[0:1], s2, v21, 0
	v_mov_b32_e32 v8, v15
	v_mad_u64_u32 v[18:19], s[0:1], s3, v3, v[8:9]
	v_mov_b32_e32 v3, v7
	v_mov_b32_e32 v7, v17
	;; [unrolled: 1-line block ×3, first 2 shown]
	v_lshlrev_b64 v[14:15], 2, v[14:15]
	v_add_co_u32_e32 v14, vcc, v1, v14
	v_addc_co_u32_e32 v15, vcc, v2, v15, vcc
	s_waitcnt vmcnt(0)
	v_mad_u64_u32 v[19:20], s[0:1], s3, v20, v[3:4]
	v_mad_u64_u32 v[20:21], s[0:1], s3, v21, v[7:8]
	v_mov_b32_e32 v7, v19
	v_lshlrev_b64 v[6:7], 2, v[6:7]
	v_mov_b32_e32 v17, v20
	v_lshlrev_b64 v[16:17], 2, v[16:17]
	v_add_co_u32_e32 v6, vcc, v1, v6
	v_addc_co_u32_e32 v7, vcc, v2, v7, vcc
	v_add_co_u32_e32 v1, vcc, v1, v16
	v_addc_co_u32_e32 v2, vcc, v2, v17, vcc
	v_mul_f16_sdwa v3, v11, v4 dst_sel:DWORD dst_unused:UNUSED_PAD src0_sel:DWORD src1_sel:WORD_1
	v_mul_f16_sdwa v8, v9, v4 dst_sel:DWORD dst_unused:UNUSED_PAD src0_sel:DWORD src1_sel:WORD_1
	v_mul_f16_sdwa v16, v10, v5 dst_sel:DWORD dst_unused:UNUSED_PAD src0_sel:DWORD src1_sel:WORD_1
	v_mul_f16_sdwa v17, v0, v5 dst_sel:DWORD dst_unused:UNUSED_PAD src0_sel:DWORD src1_sel:WORD_1
	v_fma_f16 v3, v9, v4, v3
	v_fma_f16 v4, v11, v4, -v8
	v_fma_f16 v0, v0, v5, v16
	v_fma_f16 v5, v10, v5, -v17
	v_add_f16_e32 v8, v12, v3
	v_add_f16_e32 v9, v3, v0
	v_sub_f16_e32 v10, v4, v5
	v_add_f16_e32 v11, v13, v4
	v_add_f16_e32 v4, v4, v5
	v_sub_f16_e32 v3, v3, v0
	v_add_f16_e32 v0, v8, v0
	v_fma_f16 v8, v9, -0.5, v12
	v_add_f16_e32 v5, v11, v5
	v_fma_f16 v4, v4, -0.5, v13
	v_fma_f16 v9, v10, s4, v8
	v_fma_f16 v8, v10, s5, v8
	;; [unrolled: 1-line block ×3, first 2 shown]
	v_pack_b32_f16 v0, v0, v5
	v_fma_f16 v3, v3, s4, v4
	global_store_dword v[14:15], v0, off
	v_pack_b32_f16 v0, v9, v10
	v_pack_b32_f16 v3, v8, v3
	global_store_dword v[6:7], v0, off
	global_store_dword v[1:2], v3, off
.LBB0_28:
	s_endpgm
	.section	.rodata,"a",@progbits
	.p2align	6, 0x0
	.amdhsa_kernel fft_rtc_back_len1800_factors_10_6_10_3_wgs_180_tpt_180_halfLds_half_op_CI_CI_sbrr_dirReg
		.amdhsa_group_segment_fixed_size 0
		.amdhsa_private_segment_fixed_size 0
		.amdhsa_kernarg_size 104
		.amdhsa_user_sgpr_count 6
		.amdhsa_user_sgpr_private_segment_buffer 1
		.amdhsa_user_sgpr_dispatch_ptr 0
		.amdhsa_user_sgpr_queue_ptr 0
		.amdhsa_user_sgpr_kernarg_segment_ptr 1
		.amdhsa_user_sgpr_dispatch_id 0
		.amdhsa_user_sgpr_flat_scratch_init 0
		.amdhsa_user_sgpr_private_segment_size 0
		.amdhsa_uses_dynamic_stack 0
		.amdhsa_system_sgpr_private_segment_wavefront_offset 0
		.amdhsa_system_sgpr_workgroup_id_x 1
		.amdhsa_system_sgpr_workgroup_id_y 0
		.amdhsa_system_sgpr_workgroup_id_z 0
		.amdhsa_system_sgpr_workgroup_info 0
		.amdhsa_system_vgpr_workitem_id 0
		.amdhsa_next_free_vgpr 63
		.amdhsa_next_free_sgpr 32
		.amdhsa_reserve_vcc 1
		.amdhsa_reserve_flat_scratch 0
		.amdhsa_float_round_mode_32 0
		.amdhsa_float_round_mode_16_64 0
		.amdhsa_float_denorm_mode_32 3
		.amdhsa_float_denorm_mode_16_64 3
		.amdhsa_dx10_clamp 1
		.amdhsa_ieee_mode 1
		.amdhsa_fp16_overflow 0
		.amdhsa_exception_fp_ieee_invalid_op 0
		.amdhsa_exception_fp_denorm_src 0
		.amdhsa_exception_fp_ieee_div_zero 0
		.amdhsa_exception_fp_ieee_overflow 0
		.amdhsa_exception_fp_ieee_underflow 0
		.amdhsa_exception_fp_ieee_inexact 0
		.amdhsa_exception_int_div_zero 0
	.end_amdhsa_kernel
	.text
.Lfunc_end0:
	.size	fft_rtc_back_len1800_factors_10_6_10_3_wgs_180_tpt_180_halfLds_half_op_CI_CI_sbrr_dirReg, .Lfunc_end0-fft_rtc_back_len1800_factors_10_6_10_3_wgs_180_tpt_180_halfLds_half_op_CI_CI_sbrr_dirReg
                                        ; -- End function
	.section	.AMDGPU.csdata,"",@progbits
; Kernel info:
; codeLenInByte = 8280
; NumSgprs: 36
; NumVgprs: 63
; ScratchSize: 0
; MemoryBound: 0
; FloatMode: 240
; IeeeMode: 1
; LDSByteSize: 0 bytes/workgroup (compile time only)
; SGPRBlocks: 4
; VGPRBlocks: 15
; NumSGPRsForWavesPerEU: 36
; NumVGPRsForWavesPerEU: 63
; Occupancy: 4
; WaveLimiterHint : 1
; COMPUTE_PGM_RSRC2:SCRATCH_EN: 0
; COMPUTE_PGM_RSRC2:USER_SGPR: 6
; COMPUTE_PGM_RSRC2:TRAP_HANDLER: 0
; COMPUTE_PGM_RSRC2:TGID_X_EN: 1
; COMPUTE_PGM_RSRC2:TGID_Y_EN: 0
; COMPUTE_PGM_RSRC2:TGID_Z_EN: 0
; COMPUTE_PGM_RSRC2:TIDIG_COMP_CNT: 0
	.type	__hip_cuid_130f6eaa73a35b9,@object ; @__hip_cuid_130f6eaa73a35b9
	.section	.bss,"aw",@nobits
	.globl	__hip_cuid_130f6eaa73a35b9
__hip_cuid_130f6eaa73a35b9:
	.byte	0                               ; 0x0
	.size	__hip_cuid_130f6eaa73a35b9, 1

	.ident	"AMD clang version 19.0.0git (https://github.com/RadeonOpenCompute/llvm-project roc-6.4.0 25133 c7fe45cf4b819c5991fe208aaa96edf142730f1d)"
	.section	".note.GNU-stack","",@progbits
	.addrsig
	.addrsig_sym __hip_cuid_130f6eaa73a35b9
	.amdgpu_metadata
---
amdhsa.kernels:
  - .args:
      - .actual_access:  read_only
        .address_space:  global
        .offset:         0
        .size:           8
        .value_kind:     global_buffer
      - .offset:         8
        .size:           8
        .value_kind:     by_value
      - .actual_access:  read_only
        .address_space:  global
        .offset:         16
        .size:           8
        .value_kind:     global_buffer
      - .actual_access:  read_only
        .address_space:  global
        .offset:         24
        .size:           8
        .value_kind:     global_buffer
      - .actual_access:  read_only
        .address_space:  global
        .offset:         32
        .size:           8
        .value_kind:     global_buffer
      - .offset:         40
        .size:           8
        .value_kind:     by_value
      - .actual_access:  read_only
        .address_space:  global
        .offset:         48
        .size:           8
        .value_kind:     global_buffer
      - .actual_access:  read_only
        .address_space:  global
        .offset:         56
        .size:           8
        .value_kind:     global_buffer
      - .offset:         64
        .size:           4
        .value_kind:     by_value
      - .actual_access:  read_only
        .address_space:  global
        .offset:         72
        .size:           8
        .value_kind:     global_buffer
      - .actual_access:  read_only
        .address_space:  global
        .offset:         80
        .size:           8
        .value_kind:     global_buffer
      - .actual_access:  read_only
        .address_space:  global
        .offset:         88
        .size:           8
        .value_kind:     global_buffer
      - .actual_access:  write_only
        .address_space:  global
        .offset:         96
        .size:           8
        .value_kind:     global_buffer
    .group_segment_fixed_size: 0
    .kernarg_segment_align: 8
    .kernarg_segment_size: 104
    .language:       OpenCL C
    .language_version:
      - 2
      - 0
    .max_flat_workgroup_size: 180
    .name:           fft_rtc_back_len1800_factors_10_6_10_3_wgs_180_tpt_180_halfLds_half_op_CI_CI_sbrr_dirReg
    .private_segment_fixed_size: 0
    .sgpr_count:     36
    .sgpr_spill_count: 0
    .symbol:         fft_rtc_back_len1800_factors_10_6_10_3_wgs_180_tpt_180_halfLds_half_op_CI_CI_sbrr_dirReg.kd
    .uniform_work_group_size: 1
    .uses_dynamic_stack: false
    .vgpr_count:     63
    .vgpr_spill_count: 0
    .wavefront_size: 64
amdhsa.target:   amdgcn-amd-amdhsa--gfx906
amdhsa.version:
  - 1
  - 2
...

	.end_amdgpu_metadata
